;; amdgpu-corpus repo=ROCm/rocBLAS kind=compiled arch=gfx1100 opt=O3
	.text
	.amdgcn_target "amdgcn-amd-amdhsa--gfx1100"
	.amdhsa_code_object_version 6
	.section	.text._ZL19rocblas_spr2_kernelILi128ELi8ELi2E24rocblas_internal_val_ptrIfEPKfPfEvbbiT2_T3_lllS6_lllT4_lli,"axG",@progbits,_ZL19rocblas_spr2_kernelILi128ELi8ELi2E24rocblas_internal_val_ptrIfEPKfPfEvbbiT2_T3_lllS6_lllT4_lli,comdat
	.globl	_ZL19rocblas_spr2_kernelILi128ELi8ELi2E24rocblas_internal_val_ptrIfEPKfPfEvbbiT2_T3_lllS6_lllT4_lli ; -- Begin function _ZL19rocblas_spr2_kernelILi128ELi8ELi2E24rocblas_internal_val_ptrIfEPKfPfEvbbiT2_T3_lllS6_lllT4_lli
	.p2align	8
	.type	_ZL19rocblas_spr2_kernelILi128ELi8ELi2E24rocblas_internal_val_ptrIfEPKfPfEvbbiT2_T3_lllS6_lllT4_lli,@function
_ZL19rocblas_spr2_kernelILi128ELi8ELi2E24rocblas_internal_val_ptrIfEPKfPfEvbbiT2_T3_lllS6_lllT4_lli: ; @_ZL19rocblas_spr2_kernelILi128ELi8ELi2E24rocblas_internal_val_ptrIfEPKfPfEvbbiT2_T3_lllS6_lllT4_lli
; %bb.0:
	s_clause 0x1
	s_load_b32 s2, s[0:1], 0x0
	s_load_b512 s[16:31], s[0:1], 0x8
	s_waitcnt lgkmcnt(0)
	s_bitcmp0_b32 s2, 0
	s_mov_b32 s2, 0
	s_cbranch_scc0 .LBB0_2
; %bb.1:
	s_load_b32 s12, s[16:17], 0x0
	s_and_not1_b32 vcc_lo, exec_lo, s2
	s_cbranch_vccz .LBB0_3
	s_branch .LBB0_4
.LBB0_2:
                                        ; implicit-def: $sgpr12
.LBB0_3:
	s_waitcnt lgkmcnt(0)
	s_mov_b32 s12, s16
.LBB0_4:
	s_waitcnt lgkmcnt(0)
	v_cmp_eq_f32_e64 s2, s12, 0
	s_delay_alu instid0(VALU_DEP_1)
	s_and_b32 vcc_lo, exec_lo, s2
	s_cbranch_vccnz .LBB0_22
; %bb.5:
	s_load_b64 s[2:3], s[0:1], 0x0
	v_and_b32_e32 v1, 0x3ff, v0
	v_bfe_u32 v0, v0, 10, 10
	s_mov_b32 s4, -1
	s_delay_alu instid0(VALU_DEP_2) | instskip(NEXT) | instid1(VALU_DEP_2)
	v_lshl_add_u32 v7, s13, 8, v1
	v_lshl_add_u32 v2, s14, 3, v0
	s_waitcnt lgkmcnt(0)
	s_bitcmp1_b32 s2, 8
	s_cselect_b32 s2, -1, 0
	s_delay_alu instid0(SALU_CYCLE_1) | instskip(NEXT) | instid1(SALU_CYCLE_1)
	s_xor_b32 s2, s2, -1
	s_and_b32 vcc_lo, exec_lo, s2
	s_cbranch_vccz .LBB0_7
; %bb.6:
	s_lshl_b32 s4, s3, 1
	s_delay_alu instid0(SALU_CYCLE_1) | instskip(NEXT) | instid1(VALU_DEP_1)
	v_sub_nc_u32_e32 v3, s4, v2
	v_mad_u64_u32 v[0:1], null, v2, v3, v[2:3]
	s_delay_alu instid0(VALU_DEP_1) | instskip(NEXT) | instid1(VALU_DEP_1)
	v_lshrrev_b32_e32 v1, 31, v0
	v_add_nc_u32_e32 v0, v0, v1
	v_sub_nc_u32_e32 v1, v7, v2
	s_delay_alu instid0(VALU_DEP_2) | instskip(NEXT) | instid1(VALU_DEP_1)
	v_ashrrev_i32_e32 v0, 1, v0
	v_add_nc_u32_e32 v0, v1, v0
	s_cbranch_execz .LBB0_8
	s_branch .LBB0_9
.LBB0_7:
                                        ; implicit-def: $vgpr0
	s_and_not1_b32 vcc_lo, exec_lo, s4
	s_cbranch_vccnz .LBB0_9
.LBB0_8:
	v_mad_u64_u32 v[0:1], null, v2, v2, v[2:3]
	s_delay_alu instid0(VALU_DEP_1) | instskip(NEXT) | instid1(VALU_DEP_1)
	v_lshrrev_b32_e32 v1, 31, v0
	v_add_nc_u32_e32 v0, v0, v1
	s_delay_alu instid0(VALU_DEP_1) | instskip(NEXT) | instid1(VALU_DEP_1)
	v_ashrrev_i32_e32 v0, 1, v0
	v_add_nc_u32_e32 v0, v0, v7
.LBB0_9:
	s_load_b256 s[4:11], s[0:1], 0x48
	v_ashrrev_i32_e32 v1, 31, v2
	s_mul_i32 s1, s15, s25
	s_mul_hi_u32 s13, s15, s24
	v_mul_lo_u32 v8, v2, s31
	v_mad_u64_u32 v[3:4], null, v2, s30, 0
	v_mul_lo_u32 v9, v2, s23
	v_mul_lo_u32 v10, v1, s30
	v_mad_u64_u32 v[5:6], null, v2, s22, 0
	v_mul_lo_u32 v1, v1, s22
	s_mul_i32 s16, s15, s24
	v_cmp_le_i32_e64 s0, s3, v2
	s_delay_alu instid0(VALU_DEP_4) | instskip(NEXT) | instid1(VALU_DEP_3)
	v_add3_u32 v4, v4, v8, v10
	v_add3_u32 v6, v6, v9, v1
	s_waitcnt lgkmcnt(0)
	s_mul_i32 s11, s15, s11
	s_mul_hi_u32 s14, s15, s10
	s_mul_i32 s10, s15, s10
	s_add_i32 s11, s14, s11
	v_lshlrev_b64 v[3:4], 2, v[3:4]
	s_lshl_b64 s[10:11], s[10:11], 2
	v_lshlrev_b64 v[5:6], 2, v[5:6]
	s_add_u32 s10, s6, s10
	s_addc_u32 s11, s7, s11
	s_lshl_b64 s[6:7], s[8:9], 2
	s_delay_alu instid0(SALU_CYCLE_1)
	s_add_u32 s6, s10, s6
	s_addc_u32 s7, s11, s7
	s_add_i32 s17, s13, s1
	s_mul_i32 s1, s15, s5
	s_lshl_b64 s[8:9], s[16:17], 2
	s_mul_hi_u32 s11, s15, s4
	s_add_u32 s5, s18, s8
	s_addc_u32 s13, s19, s9
	s_lshl_b64 s[8:9], s[20:21], 2
	s_mul_i32 s10, s15, s4
	s_add_u32 s4, s5, s8
	s_addc_u32 s5, s13, s9
	s_add_i32 s11, s11, s1
	s_delay_alu instid0(SALU_CYCLE_1) | instskip(NEXT) | instid1(SALU_CYCLE_1)
	s_lshl_b64 s[8:9], s[10:11], 2
	s_add_u32 s1, s26, s8
	s_addc_u32 s10, s27, s9
	s_lshl_b64 s[8:9], s[28:29], 2
	s_delay_alu instid0(SALU_CYCLE_1)
	s_add_u32 s8, s1, s8
	s_addc_u32 s9, s10, s9
	s_and_b32 vcc_lo, exec_lo, s2
	s_cbranch_vccz .LBB0_11
; %bb.10:
	v_cmp_gt_i32_e32 vcc_lo, s3, v7
	v_cmp_ge_i32_e64 s1, v7, v2
	s_delay_alu instid0(VALU_DEP_1)
	s_and_b32 s10, s1, vcc_lo
	s_mov_b32 s1, 0
	s_and_b32 s10, s10, exec_lo
	s_branch .LBB0_12
.LBB0_11:
	s_mov_b32 s1, -1
	s_mov_b32 s10, 0
.LBB0_12:
	v_add_co_u32 v3, vcc_lo, s8, v3
	v_add_co_ci_u32_e32 v4, vcc_lo, s9, v4, vcc_lo
	v_add_co_u32 v5, vcc_lo, s4, v5
	v_add_co_ci_u32_e32 v6, vcc_lo, s5, v6, vcc_lo
	s_and_not1_b32 vcc_lo, exec_lo, s1
	s_cbranch_vccz .LBB0_16
; %bb.13:
	v_ashrrev_i32_e32 v1, 31, v0
	s_and_saveexec_b32 s1, s10
	s_cbranch_execnz .LBB0_17
.LBB0_14:
	s_or_b32 exec_lo, exec_lo, s1
	v_add_nc_u32_e32 v7, 0x80, v7
	s_and_not1_b32 vcc_lo, exec_lo, s2
	s_cbranch_vccnz .LBB0_18
.LBB0_15:
	s_delay_alu instid0(VALU_DEP_1) | instskip(SKIP_1) | instid1(VALU_DEP_1)
	v_cmp_gt_i32_e32 vcc_lo, s3, v7
	v_cmp_le_i32_e64 s1, v2, v7
	s_and_b32 s1, s1, vcc_lo
	s_delay_alu instid0(SALU_CYCLE_1)
	s_and_b32 s1, s1, exec_lo
	s_cbranch_execz .LBB0_19
	s_branch .LBB0_20
.LBB0_16:
	v_cmp_le_i32_e32 vcc_lo, v7, v2
	s_xor_b32 s1, s0, -1
	s_and_not1_b32 s10, s10, exec_lo
	s_and_b32 s1, vcc_lo, s1
	s_delay_alu instid0(SALU_CYCLE_1) | instskip(NEXT) | instid1(SALU_CYCLE_1)
	s_and_b32 s1, s1, exec_lo
	s_or_b32 s10, s10, s1
	v_ashrrev_i32_e32 v1, 31, v0
	s_and_saveexec_b32 s1, s10
	s_cbranch_execz .LBB0_14
.LBB0_17:
	v_ashrrev_i32_e32 v12, 31, v7
	v_mul_lo_u32 v13, v7, s31
	v_mad_u64_u32 v[8:9], null, v7, s30, 0
	v_mul_lo_u32 v15, v7, s23
	s_delay_alu instid0(VALU_DEP_4) | instskip(SKIP_2) | instid1(VALU_DEP_3)
	v_mul_lo_u32 v14, v12, s30
	v_mad_u64_u32 v[10:11], null, v7, s22, 0
	v_mul_lo_u32 v12, v12, s22
	v_add3_u32 v9, v9, v13, v14
	s_delay_alu instid0(VALU_DEP_2) | instskip(NEXT) | instid1(VALU_DEP_2)
	v_add3_u32 v11, v11, v15, v12
	v_lshlrev_b64 v[8:9], 2, v[8:9]
	s_delay_alu instid0(VALU_DEP_2) | instskip(NEXT) | instid1(VALU_DEP_2)
	v_lshlrev_b64 v[10:11], 2, v[10:11]
	v_add_co_u32 v8, vcc_lo, s8, v8
	s_delay_alu instid0(VALU_DEP_3) | instskip(NEXT) | instid1(VALU_DEP_3)
	v_add_co_ci_u32_e32 v9, vcc_lo, s9, v9, vcc_lo
	v_add_co_u32 v10, vcc_lo, s4, v10
	s_delay_alu instid0(VALU_DEP_4)
	v_add_co_ci_u32_e32 v11, vcc_lo, s5, v11, vcc_lo
	global_load_b32 v12, v[8:9], off
	v_lshlrev_b64 v[8:9], 2, v[0:1]
	s_clause 0x1
	global_load_b32 v10, v[10:11], off
	global_load_b32 v11, v[5:6], off
	;; [unrolled: 1-line block ×3, first 2 shown]
	v_add_co_u32 v8, vcc_lo, s6, v8
	v_add_co_ci_u32_e32 v9, vcc_lo, s7, v9, vcc_lo
	global_load_b32 v14, v[8:9], off
	s_waitcnt vmcnt(3)
	v_mul_f32_e32 v10, s12, v10
	v_mul_f32_e32 v12, s12, v12
	s_waitcnt vmcnt(2)
	s_delay_alu instid0(VALU_DEP_1) | instskip(SKIP_1) | instid1(VALU_DEP_1)
	v_mul_f32_e32 v11, v12, v11
	s_waitcnt vmcnt(1)
	v_fmac_f32_e32 v11, v10, v13
	s_waitcnt vmcnt(0)
	s_delay_alu instid0(VALU_DEP_1)
	v_add_f32_e32 v10, v14, v11
	global_store_b32 v[8:9], v10, off
	s_or_b32 exec_lo, exec_lo, s1
	v_add_nc_u32_e32 v7, 0x80, v7
	s_and_not1_b32 vcc_lo, exec_lo, s2
	s_cbranch_vccz .LBB0_15
.LBB0_18:
	s_mov_b32 s1, 0
.LBB0_19:
	s_delay_alu instid0(VALU_DEP_1) | instskip(SKIP_3) | instid1(SALU_CYCLE_1)
	v_cmp_le_i32_e32 vcc_lo, v7, v2
	s_xor_b32 s0, s0, -1
	s_and_not1_b32 s1, s1, exec_lo
	s_and_b32 s0, s0, vcc_lo
	s_and_b32 s0, s0, exec_lo
	s_delay_alu instid0(SALU_CYCLE_1)
	s_or_b32 s1, s1, s0
.LBB0_20:
	s_delay_alu instid0(SALU_CYCLE_1)
	s_and_saveexec_b32 s0, s1
	s_cbranch_execz .LBB0_22
; %bb.21:
	v_ashrrev_i32_e32 v2, 31, v7
	v_mul_lo_u32 v12, v7, s31
	v_mad_u64_u32 v[8:9], null, v7, s30, 0
	v_mul_lo_u32 v14, v7, s23
	s_delay_alu instid0(VALU_DEP_4) | instskip(SKIP_3) | instid1(VALU_DEP_4)
	v_mul_lo_u32 v13, v2, s30
	v_mad_u64_u32 v[10:11], null, v7, s22, 0
	v_mul_lo_u32 v2, v2, s22
	v_lshlrev_b64 v[0:1], 2, v[0:1]
	v_add3_u32 v9, v9, v12, v13
	s_delay_alu instid0(VALU_DEP_3) | instskip(NEXT) | instid1(VALU_DEP_2)
	v_add3_u32 v11, v11, v14, v2
	v_lshlrev_b64 v[7:8], 2, v[8:9]
	s_delay_alu instid0(VALU_DEP_2) | instskip(NEXT) | instid1(VALU_DEP_2)
	v_lshlrev_b64 v[9:10], 2, v[10:11]
	v_add_co_u32 v7, vcc_lo, s8, v7
	s_delay_alu instid0(VALU_DEP_3) | instskip(NEXT) | instid1(VALU_DEP_3)
	v_add_co_ci_u32_e32 v8, vcc_lo, s9, v8, vcc_lo
	v_add_co_u32 v9, vcc_lo, s4, v9
	s_delay_alu instid0(VALU_DEP_4)
	v_add_co_ci_u32_e32 v10, vcc_lo, s5, v10, vcc_lo
	global_load_b32 v2, v[7:8], off
	v_add_co_u32 v0, vcc_lo, s6, v0
	s_clause 0x1
	global_load_b32 v7, v[9:10], off
	global_load_b32 v5, v[5:6], off
	;; [unrolled: 1-line block ×3, first 2 shown]
	v_add_co_ci_u32_e32 v1, vcc_lo, s7, v1, vcc_lo
	global_load_b32 v4, v[0:1], off offset:512
	s_waitcnt vmcnt(4)
	v_mul_f32_e32 v2, s12, v2
	s_waitcnt vmcnt(3)
	v_mul_f32_e32 v6, s12, v7
	s_waitcnt vmcnt(2)
	s_delay_alu instid0(VALU_DEP_2) | instskip(SKIP_1) | instid1(VALU_DEP_1)
	v_mul_f32_e32 v2, v2, v5
	s_waitcnt vmcnt(1)
	v_fmac_f32_e32 v2, v6, v3
	s_waitcnt vmcnt(0)
	s_delay_alu instid0(VALU_DEP_1)
	v_add_f32_e32 v2, v4, v2
	global_store_b32 v[0:1], v2, off offset:512
.LBB0_22:
	s_nop 0
	s_sendmsg sendmsg(MSG_DEALLOC_VGPRS)
	s_endpgm
	.section	.rodata,"a",@progbits
	.p2align	6, 0x0
	.amdhsa_kernel _ZL19rocblas_spr2_kernelILi128ELi8ELi2E24rocblas_internal_val_ptrIfEPKfPfEvbbiT2_T3_lllS6_lllT4_lli
		.amdhsa_group_segment_fixed_size 0
		.amdhsa_private_segment_fixed_size 0
		.amdhsa_kernarg_size 108
		.amdhsa_user_sgpr_count 13
		.amdhsa_user_sgpr_dispatch_ptr 0
		.amdhsa_user_sgpr_queue_ptr 0
		.amdhsa_user_sgpr_kernarg_segment_ptr 1
		.amdhsa_user_sgpr_dispatch_id 0
		.amdhsa_user_sgpr_private_segment_size 0
		.amdhsa_wavefront_size32 1
		.amdhsa_uses_dynamic_stack 0
		.amdhsa_enable_private_segment 0
		.amdhsa_system_sgpr_workgroup_id_x 1
		.amdhsa_system_sgpr_workgroup_id_y 1
		.amdhsa_system_sgpr_workgroup_id_z 1
		.amdhsa_system_sgpr_workgroup_info 0
		.amdhsa_system_vgpr_workitem_id 1
		.amdhsa_next_free_vgpr 16
		.amdhsa_next_free_sgpr 32
		.amdhsa_reserve_vcc 1
		.amdhsa_float_round_mode_32 0
		.amdhsa_float_round_mode_16_64 0
		.amdhsa_float_denorm_mode_32 3
		.amdhsa_float_denorm_mode_16_64 3
		.amdhsa_dx10_clamp 1
		.amdhsa_ieee_mode 1
		.amdhsa_fp16_overflow 0
		.amdhsa_workgroup_processor_mode 1
		.amdhsa_memory_ordered 1
		.amdhsa_forward_progress 0
		.amdhsa_shared_vgpr_count 0
		.amdhsa_exception_fp_ieee_invalid_op 0
		.amdhsa_exception_fp_denorm_src 0
		.amdhsa_exception_fp_ieee_div_zero 0
		.amdhsa_exception_fp_ieee_overflow 0
		.amdhsa_exception_fp_ieee_underflow 0
		.amdhsa_exception_fp_ieee_inexact 0
		.amdhsa_exception_int_div_zero 0
	.end_amdhsa_kernel
	.section	.text._ZL19rocblas_spr2_kernelILi128ELi8ELi2E24rocblas_internal_val_ptrIfEPKfPfEvbbiT2_T3_lllS6_lllT4_lli,"axG",@progbits,_ZL19rocblas_spr2_kernelILi128ELi8ELi2E24rocblas_internal_val_ptrIfEPKfPfEvbbiT2_T3_lllS6_lllT4_lli,comdat
.Lfunc_end0:
	.size	_ZL19rocblas_spr2_kernelILi128ELi8ELi2E24rocblas_internal_val_ptrIfEPKfPfEvbbiT2_T3_lllS6_lllT4_lli, .Lfunc_end0-_ZL19rocblas_spr2_kernelILi128ELi8ELi2E24rocblas_internal_val_ptrIfEPKfPfEvbbiT2_T3_lllS6_lllT4_lli
                                        ; -- End function
	.section	.AMDGPU.csdata,"",@progbits
; Kernel info:
; codeLenInByte = 1260
; NumSgprs: 34
; NumVgprs: 16
; ScratchSize: 0
; MemoryBound: 0
; FloatMode: 240
; IeeeMode: 1
; LDSByteSize: 0 bytes/workgroup (compile time only)
; SGPRBlocks: 4
; VGPRBlocks: 1
; NumSGPRsForWavesPerEU: 34
; NumVGPRsForWavesPerEU: 16
; Occupancy: 16
; WaveLimiterHint : 0
; COMPUTE_PGM_RSRC2:SCRATCH_EN: 0
; COMPUTE_PGM_RSRC2:USER_SGPR: 13
; COMPUTE_PGM_RSRC2:TRAP_HANDLER: 0
; COMPUTE_PGM_RSRC2:TGID_X_EN: 1
; COMPUTE_PGM_RSRC2:TGID_Y_EN: 1
; COMPUTE_PGM_RSRC2:TGID_Z_EN: 1
; COMPUTE_PGM_RSRC2:TIDIG_COMP_CNT: 1
	.section	.text._ZL19rocblas_spr2_kernelILi128ELi8ELi1E24rocblas_internal_val_ptrIdEPKdPdEvbbiT2_T3_lllS6_lllT4_lli,"axG",@progbits,_ZL19rocblas_spr2_kernelILi128ELi8ELi1E24rocblas_internal_val_ptrIdEPKdPdEvbbiT2_T3_lllS6_lllT4_lli,comdat
	.globl	_ZL19rocblas_spr2_kernelILi128ELi8ELi1E24rocblas_internal_val_ptrIdEPKdPdEvbbiT2_T3_lllS6_lllT4_lli ; -- Begin function _ZL19rocblas_spr2_kernelILi128ELi8ELi1E24rocblas_internal_val_ptrIdEPKdPdEvbbiT2_T3_lllS6_lllT4_lli
	.p2align	8
	.type	_ZL19rocblas_spr2_kernelILi128ELi8ELi1E24rocblas_internal_val_ptrIdEPKdPdEvbbiT2_T3_lllS6_lllT4_lli,@function
_ZL19rocblas_spr2_kernelILi128ELi8ELi1E24rocblas_internal_val_ptrIdEPKdPdEvbbiT2_T3_lllS6_lllT4_lli: ; @_ZL19rocblas_spr2_kernelILi128ELi8ELi1E24rocblas_internal_val_ptrIdEPKdPdEvbbiT2_T3_lllS6_lllT4_lli
; %bb.0:
	s_clause 0x1
	s_load_b32 s2, s[0:1], 0x0
	s_load_b512 s[16:31], s[0:1], 0x8
	s_waitcnt lgkmcnt(0)
	s_bitcmp1_b32 s2, 0
	v_dual_mov_b32 v1, s16 :: v_dual_mov_b32 v2, s17
	s_cselect_b32 s2, -1, 0
	s_delay_alu instid0(SALU_CYCLE_1)
	s_and_b32 vcc_lo, exec_lo, s2
	s_cbranch_vccnz .LBB1_2
; %bb.1:
	v_dual_mov_b32 v1, s16 :: v_dual_mov_b32 v2, s17
	flat_load_b64 v[1:2], v[1:2]
.LBB1_2:
	s_mov_b32 s2, exec_lo
	s_waitcnt vmcnt(0) lgkmcnt(0)
	v_cmpx_neq_f64_e32 0, v[1:2]
	s_cbranch_execz .LBB1_13
; %bb.3:
	s_load_b64 s[2:3], s[0:1], 0x0
	v_and_b32_e32 v3, 0x3ff, v0
	v_bfe_u32 v0, v0, 10, 10
	s_mov_b32 s4, -1
	s_delay_alu instid0(VALU_DEP_2) | instskip(NEXT) | instid1(VALU_DEP_2)
	v_lshl_add_u32 v4, s13, 7, v3
	v_lshl_add_u32 v0, s14, 3, v0
	s_waitcnt lgkmcnt(0)
	s_bitcmp1_b32 s2, 8
	s_cselect_b32 s2, -1, 0
	s_delay_alu instid0(SALU_CYCLE_1) | instskip(NEXT) | instid1(SALU_CYCLE_1)
	s_xor_b32 s2, s2, -1
	s_and_b32 vcc_lo, exec_lo, s2
	s_cbranch_vccz .LBB1_5
; %bb.4:
	s_lshl_b32 s4, s3, 1
	s_delay_alu instid0(SALU_CYCLE_1) | instskip(NEXT) | instid1(VALU_DEP_1)
	v_sub_nc_u32_e32 v3, s4, v0
	v_mad_u64_u32 v[5:6], null, v0, v3, v[0:1]
	s_delay_alu instid0(VALU_DEP_1) | instskip(NEXT) | instid1(VALU_DEP_1)
	v_lshrrev_b32_e32 v3, 31, v5
	v_add_nc_u32_e32 v3, v5, v3
	v_sub_nc_u32_e32 v5, v4, v0
	s_delay_alu instid0(VALU_DEP_2) | instskip(NEXT) | instid1(VALU_DEP_1)
	v_ashrrev_i32_e32 v3, 1, v3
	v_add_nc_u32_e32 v3, v5, v3
	s_cbranch_execz .LBB1_6
	s_branch .LBB1_7
.LBB1_5:
                                        ; implicit-def: $vgpr3
	s_and_not1_b32 vcc_lo, exec_lo, s4
	s_cbranch_vccnz .LBB1_7
.LBB1_6:
	v_mad_u64_u32 v[5:6], null, v0, v0, v[0:1]
	s_delay_alu instid0(VALU_DEP_1) | instskip(NEXT) | instid1(VALU_DEP_1)
	v_lshrrev_b32_e32 v3, 31, v5
	v_add_nc_u32_e32 v3, v5, v3
	s_delay_alu instid0(VALU_DEP_1) | instskip(NEXT) | instid1(VALU_DEP_1)
	v_ashrrev_i32_e32 v3, 1, v3
	v_add_nc_u32_e32 v3, v3, v4
.LBB1_7:
	s_and_b32 vcc_lo, exec_lo, s2
	s_cbranch_vccz .LBB1_9
; %bb.8:
	v_cmp_gt_i32_e32 vcc_lo, s3, v4
	v_cmp_ge_i32_e64 s2, v4, v0
	s_delay_alu instid0(VALU_DEP_1) | instskip(NEXT) | instid1(SALU_CYCLE_1)
	s_and_b32 s4, s2, vcc_lo
	s_and_b32 s4, s4, exec_lo
	s_cbranch_execz .LBB1_10
	s_branch .LBB1_11
.LBB1_9:
	s_mov_b32 s4, 0
.LBB1_10:
	v_cmp_gt_i32_e32 vcc_lo, s3, v0
	v_cmp_le_i32_e64 s2, v4, v0
	s_and_not1_b32 s3, s4, exec_lo
	s_delay_alu instid0(VALU_DEP_1) | instskip(NEXT) | instid1(SALU_CYCLE_1)
	s_and_b32 s2, s2, vcc_lo
	s_and_b32 s2, s2, exec_lo
	s_delay_alu instid0(SALU_CYCLE_1)
	s_or_b32 s4, s3, s2
.LBB1_11:
	s_delay_alu instid0(SALU_CYCLE_1)
	s_and_b32 exec_lo, exec_lo, s4
	s_cbranch_execz .LBB1_13
; %bb.12:
	s_load_b256 s[0:7], s[0:1], 0x48
	v_ashrrev_i32_e32 v7, 31, v4
	s_mul_i32 s9, s15, s25
	s_mul_hi_u32 s10, s15, s24
	v_mul_lo_u32 v8, v4, s31
	v_mad_u64_u32 v[5:6], null, v4, s30, 0
	v_mul_lo_u32 v9, v7, s30
	s_mul_i32 s8, s15, s24
	s_add_i32 s9, s10, s9
	v_ashrrev_i32_e32 v11, 31, v0
	s_lshl_b64 s[8:9], s[8:9], 3
	v_mul_lo_u32 v12, v4, s23
	s_add_u32 s10, s18, s8
	s_addc_u32 s11, s19, s9
	s_lshl_b64 s[8:9], s[20:21], 3
	v_add3_u32 v6, v6, v8, v9
	s_add_u32 s8, s10, s8
	s_addc_u32 s9, s11, s9
	v_mul_lo_u32 v13, v7, s22
	s_waitcnt lgkmcnt(0)
	s_mul_i32 s1, s15, s1
	s_mul_hi_u32 s10, s15, s0
	s_mul_i32 s0, s15, s0
	s_add_i32 s1, s10, s1
	v_lshlrev_b64 v[5:6], 3, v[5:6]
	s_lshl_b64 s[0:1], s[0:1], 3
	v_mad_u64_u32 v[7:8], null, v4, s22, 0
	s_add_u32 s10, s26, s0
	s_addc_u32 s11, s27, s1
	s_lshl_b64 s[0:1], s[28:29], 3
	v_mul_lo_u32 v4, v0, s23
	s_add_u32 s0, s10, s0
	s_addc_u32 s1, s11, s1
	v_add_co_u32 v5, vcc_lo, s0, v5
	v_add_co_ci_u32_e32 v6, vcc_lo, s1, v6, vcc_lo
	v_mul_lo_u32 v14, v11, s22
	v_mad_u64_u32 v[9:10], null, v0, s22, 0
	global_load_b64 v[5:6], v[5:6], off
	v_add3_u32 v8, v8, v12, v13
	v_mul_lo_u32 v13, v11, s30
	v_mad_u64_u32 v[11:12], null, v0, s30, 0
	v_add3_u32 v10, v10, v4, v14
	s_delay_alu instid0(VALU_DEP_4) | instskip(SKIP_1) | instid1(VALU_DEP_3)
	v_lshlrev_b64 v[7:8], 3, v[7:8]
	v_mul_lo_u32 v4, v0, s31
	v_lshlrev_b64 v[9:10], 3, v[9:10]
	s_delay_alu instid0(VALU_DEP_3) | instskip(NEXT) | instid1(VALU_DEP_4)
	v_add_co_u32 v7, vcc_lo, s8, v7
	v_add_co_ci_u32_e32 v8, vcc_lo, s9, v8, vcc_lo
	s_delay_alu instid0(VALU_DEP_3) | instskip(NEXT) | instid1(VALU_DEP_4)
	v_add_co_u32 v9, vcc_lo, s8, v9
	v_add_co_ci_u32_e32 v10, vcc_lo, s9, v10, vcc_lo
	s_clause 0x1
	global_load_b64 v[7:8], v[7:8], off
	global_load_b64 v[9:10], v[9:10], off
	v_add3_u32 v12, v12, v4, v13
	v_ashrrev_i32_e32 v4, 31, v3
	s_delay_alu instid0(VALU_DEP_2) | instskip(NEXT) | instid1(VALU_DEP_2)
	v_lshlrev_b64 v[11:12], 3, v[11:12]
	v_lshlrev_b64 v[3:4], 3, v[3:4]
	s_delay_alu instid0(VALU_DEP_2) | instskip(NEXT) | instid1(VALU_DEP_3)
	v_add_co_u32 v11, vcc_lo, s0, v11
	v_add_co_ci_u32_e32 v12, vcc_lo, s1, v12, vcc_lo
	s_mul_i32 s0, s15, s7
	s_mul_hi_u32 s1, s15, s6
	global_load_b64 v[11:12], v[11:12], off
	s_add_i32 s1, s1, s0
	s_mul_i32 s0, s15, s6
	s_delay_alu instid0(SALU_CYCLE_1) | instskip(NEXT) | instid1(SALU_CYCLE_1)
	s_lshl_b64 s[0:1], s[0:1], 3
	s_add_u32 s2, s2, s0
	s_addc_u32 s3, s3, s1
	s_lshl_b64 s[0:1], s[4:5], 3
	s_delay_alu instid0(SALU_CYCLE_1)
	s_add_u32 s0, s2, s0
	s_addc_u32 s1, s3, s1
	v_add_co_u32 v3, vcc_lo, s0, v3
	v_add_co_ci_u32_e32 v4, vcc_lo, s1, v4, vcc_lo
	global_load_b64 v[13:14], v[3:4], off
	s_waitcnt vmcnt(4)
	v_mul_f64 v[5:6], v[1:2], v[5:6]
	s_waitcnt vmcnt(3)
	v_mul_f64 v[0:1], v[1:2], v[7:8]
	s_waitcnt vmcnt(2)
	s_delay_alu instid0(VALU_DEP_2) | instskip(SKIP_1) | instid1(VALU_DEP_1)
	v_mul_f64 v[5:6], v[5:6], v[9:10]
	s_waitcnt vmcnt(1)
	v_fma_f64 v[0:1], v[0:1], v[11:12], v[5:6]
	s_waitcnt vmcnt(0)
	s_delay_alu instid0(VALU_DEP_1)
	v_add_f64 v[0:1], v[13:14], v[0:1]
	global_store_b64 v[3:4], v[0:1], off
.LBB1_13:
	s_nop 0
	s_sendmsg sendmsg(MSG_DEALLOC_VGPRS)
	s_endpgm
	.section	.rodata,"a",@progbits
	.p2align	6, 0x0
	.amdhsa_kernel _ZL19rocblas_spr2_kernelILi128ELi8ELi1E24rocblas_internal_val_ptrIdEPKdPdEvbbiT2_T3_lllS6_lllT4_lli
		.amdhsa_group_segment_fixed_size 0
		.amdhsa_private_segment_fixed_size 0
		.amdhsa_kernarg_size 108
		.amdhsa_user_sgpr_count 13
		.amdhsa_user_sgpr_dispatch_ptr 0
		.amdhsa_user_sgpr_queue_ptr 0
		.amdhsa_user_sgpr_kernarg_segment_ptr 1
		.amdhsa_user_sgpr_dispatch_id 0
		.amdhsa_user_sgpr_private_segment_size 0
		.amdhsa_wavefront_size32 1
		.amdhsa_uses_dynamic_stack 0
		.amdhsa_enable_private_segment 0
		.amdhsa_system_sgpr_workgroup_id_x 1
		.amdhsa_system_sgpr_workgroup_id_y 1
		.amdhsa_system_sgpr_workgroup_id_z 1
		.amdhsa_system_sgpr_workgroup_info 0
		.amdhsa_system_vgpr_workitem_id 1
		.amdhsa_next_free_vgpr 15
		.amdhsa_next_free_sgpr 32
		.amdhsa_reserve_vcc 1
		.amdhsa_float_round_mode_32 0
		.amdhsa_float_round_mode_16_64 0
		.amdhsa_float_denorm_mode_32 3
		.amdhsa_float_denorm_mode_16_64 3
		.amdhsa_dx10_clamp 1
		.amdhsa_ieee_mode 1
		.amdhsa_fp16_overflow 0
		.amdhsa_workgroup_processor_mode 1
		.amdhsa_memory_ordered 1
		.amdhsa_forward_progress 0
		.amdhsa_shared_vgpr_count 0
		.amdhsa_exception_fp_ieee_invalid_op 0
		.amdhsa_exception_fp_denorm_src 0
		.amdhsa_exception_fp_ieee_div_zero 0
		.amdhsa_exception_fp_ieee_overflow 0
		.amdhsa_exception_fp_ieee_underflow 0
		.amdhsa_exception_fp_ieee_inexact 0
		.amdhsa_exception_int_div_zero 0
	.end_amdhsa_kernel
	.section	.text._ZL19rocblas_spr2_kernelILi128ELi8ELi1E24rocblas_internal_val_ptrIdEPKdPdEvbbiT2_T3_lllS6_lllT4_lli,"axG",@progbits,_ZL19rocblas_spr2_kernelILi128ELi8ELi1E24rocblas_internal_val_ptrIdEPKdPdEvbbiT2_T3_lllS6_lllT4_lli,comdat
.Lfunc_end1:
	.size	_ZL19rocblas_spr2_kernelILi128ELi8ELi1E24rocblas_internal_val_ptrIdEPKdPdEvbbiT2_T3_lllS6_lllT4_lli, .Lfunc_end1-_ZL19rocblas_spr2_kernelILi128ELi8ELi1E24rocblas_internal_val_ptrIdEPKdPdEvbbiT2_T3_lllS6_lllT4_lli
                                        ; -- End function
	.section	.AMDGPU.csdata,"",@progbits
; Kernel info:
; codeLenInByte = 880
; NumSgprs: 34
; NumVgprs: 15
; ScratchSize: 0
; MemoryBound: 0
; FloatMode: 240
; IeeeMode: 1
; LDSByteSize: 0 bytes/workgroup (compile time only)
; SGPRBlocks: 4
; VGPRBlocks: 1
; NumSGPRsForWavesPerEU: 34
; NumVGPRsForWavesPerEU: 15
; Occupancy: 16
; WaveLimiterHint : 0
; COMPUTE_PGM_RSRC2:SCRATCH_EN: 0
; COMPUTE_PGM_RSRC2:USER_SGPR: 13
; COMPUTE_PGM_RSRC2:TRAP_HANDLER: 0
; COMPUTE_PGM_RSRC2:TGID_X_EN: 1
; COMPUTE_PGM_RSRC2:TGID_Y_EN: 1
; COMPUTE_PGM_RSRC2:TGID_Z_EN: 1
; COMPUTE_PGM_RSRC2:TIDIG_COMP_CNT: 1
	.section	.text._ZL19rocblas_spr2_kernelILi128ELi8ELi2E24rocblas_internal_val_ptrIfEPKPKfPKPfEvbbiT2_T3_lllSA_lllT4_lli,"axG",@progbits,_ZL19rocblas_spr2_kernelILi128ELi8ELi2E24rocblas_internal_val_ptrIfEPKPKfPKPfEvbbiT2_T3_lllSA_lllT4_lli,comdat
	.globl	_ZL19rocblas_spr2_kernelILi128ELi8ELi2E24rocblas_internal_val_ptrIfEPKPKfPKPfEvbbiT2_T3_lllSA_lllT4_lli ; -- Begin function _ZL19rocblas_spr2_kernelILi128ELi8ELi2E24rocblas_internal_val_ptrIfEPKPKfPKPfEvbbiT2_T3_lllSA_lllT4_lli
	.p2align	8
	.type	_ZL19rocblas_spr2_kernelILi128ELi8ELi2E24rocblas_internal_val_ptrIfEPKPKfPKPfEvbbiT2_T3_lllSA_lllT4_lli,@function
_ZL19rocblas_spr2_kernelILi128ELi8ELi2E24rocblas_internal_val_ptrIfEPKPKfPKPfEvbbiT2_T3_lllSA_lllT4_lli: ; @_ZL19rocblas_spr2_kernelILi128ELi8ELi2E24rocblas_internal_val_ptrIfEPKPKfPKPfEvbbiT2_T3_lllSA_lllT4_lli
; %bb.0:
	s_clause 0x1
	s_load_b32 s2, s[0:1], 0x0
	s_load_b256 s[4:11], s[0:1], 0x8
	s_mov_b32 s24, s15
	s_waitcnt lgkmcnt(0)
	s_bitcmp0_b32 s2, 0
	s_mov_b32 s2, 0
	s_cbranch_scc0 .LBB2_2
; %bb.1:
	s_load_b32 s12, s[4:5], 0x0
	s_and_not1_b32 vcc_lo, exec_lo, s2
	s_cbranch_vccz .LBB2_3
	s_branch .LBB2_4
.LBB2_2:
                                        ; implicit-def: $sgpr12
.LBB2_3:
	s_waitcnt lgkmcnt(0)
	s_mov_b32 s12, s4
.LBB2_4:
	s_waitcnt lgkmcnt(0)
	v_cmp_eq_f32_e64 s2, s12, 0
	s_mov_b32 s25, 0
	s_delay_alu instid0(VALU_DEP_1)
	s_and_b32 vcc_lo, exec_lo, s2
	s_cbranch_vccnz .LBB2_22
; %bb.5:
	s_clause 0x3
	s_load_b64 s[4:5], s[0:1], 0x0
	s_load_b128 s[20:23], s[0:1], 0x50
	s_load_b128 s[16:19], s[0:1], 0x30
	s_load_b64 s[2:3], s[0:1], 0x40
	v_and_b32_e32 v1, 0x3ff, v0
	v_bfe_u32 v0, v0, 10, 10
	s_delay_alu instid0(VALU_DEP_2) | instskip(NEXT) | instid1(VALU_DEP_2)
	v_lshl_add_u32 v7, s13, 8, v1
	v_lshl_add_u32 v2, s14, 3, v0
	s_mov_b32 s13, -1
	s_waitcnt lgkmcnt(0)
	s_bitcmp1_b32 s4, 8
	s_cselect_b32 s0, -1, 0
	s_lshl_b64 s[24:25], s[24:25], 3
	s_xor_b32 s4, s0, -1
	s_add_u32 s0, s20, s24
	s_addc_u32 s1, s21, s25
	s_add_u32 s6, s6, s24
	s_addc_u32 s7, s7, s25
	;; [unrolled: 2-line block ×3, first 2 shown]
	s_load_b64 s[0:1], s[0:1], 0x0
	s_load_b64 s[16:17], s[6:7], 0x0
	;; [unrolled: 1-line block ×3, first 2 shown]
	s_and_b32 vcc_lo, exec_lo, s4
	s_cbranch_vccz .LBB2_7
; %bb.6:
	s_lshl_b32 s13, s5, 1
	s_delay_alu instid0(SALU_CYCLE_1) | instskip(NEXT) | instid1(VALU_DEP_1)
	v_sub_nc_u32_e32 v3, s13, v2
	v_mad_u64_u32 v[0:1], null, v2, v3, v[2:3]
	s_delay_alu instid0(VALU_DEP_1) | instskip(NEXT) | instid1(VALU_DEP_1)
	v_lshrrev_b32_e32 v1, 31, v0
	v_add_nc_u32_e32 v0, v0, v1
	v_sub_nc_u32_e32 v1, v7, v2
	s_delay_alu instid0(VALU_DEP_2) | instskip(NEXT) | instid1(VALU_DEP_1)
	v_ashrrev_i32_e32 v0, 1, v0
	v_add_nc_u32_e32 v0, v1, v0
	s_cbranch_execz .LBB2_8
	s_branch .LBB2_9
.LBB2_7:
                                        ; implicit-def: $vgpr0
	s_and_not1_b32 vcc_lo, exec_lo, s13
	s_cbranch_vccnz .LBB2_9
.LBB2_8:
	v_mad_u64_u32 v[0:1], null, v2, v2, v[2:3]
	s_delay_alu instid0(VALU_DEP_1) | instskip(NEXT) | instid1(VALU_DEP_1)
	v_lshrrev_b32_e32 v1, 31, v0
	v_add_nc_u32_e32 v0, v0, v1
	s_delay_alu instid0(VALU_DEP_1) | instskip(NEXT) | instid1(VALU_DEP_1)
	v_ashrrev_i32_e32 v0, 1, v0
	v_add_nc_u32_e32 v0, v0, v7
.LBB2_9:
	v_ashrrev_i32_e32 v1, 31, v2
	v_mul_lo_u32 v8, v2, s3
	v_mad_u64_u32 v[3:4], null, v2, s2, 0
	v_mul_lo_u32 v10, v2, s11
	s_delay_alu instid0(VALU_DEP_4)
	v_mul_lo_u32 v9, v1, s2
	v_mul_lo_u32 v1, v1, s10
	v_mad_u64_u32 v[5:6], null, v2, s10, 0
	s_lshl_b64 s[14:15], s[22:23], 2
	s_waitcnt lgkmcnt(0)
	s_add_u32 s13, s0, s14
	s_addc_u32 s14, s1, s15
	s_delay_alu instid0(VALU_DEP_3) | instskip(SKIP_1) | instid1(VALU_DEP_2)
	v_add3_u32 v4, v4, v8, v9
	s_lshl_b64 s[0:1], s[8:9], 2
	v_add3_u32 v6, v6, v10, v1
	s_add_u32 s8, s16, s0
	s_addc_u32 s9, s17, s1
	s_lshl_b64 s[0:1], s[18:19], 2
	v_lshlrev_b64 v[3:4], 2, v[3:4]
	v_lshlrev_b64 v[5:6], 2, v[5:6]
	s_add_u32 s6, s6, s0
	v_cmp_le_i32_e64 s0, s5, v2
	s_addc_u32 s7, s7, s1
	s_and_b32 vcc_lo, exec_lo, s4
	s_cbranch_vccz .LBB2_11
; %bb.10:
	v_cmp_gt_i32_e32 vcc_lo, s5, v7
	v_cmp_ge_i32_e64 s1, v7, v2
	s_delay_alu instid0(VALU_DEP_1)
	s_and_b32 s15, s1, vcc_lo
	s_mov_b32 s1, 0
	s_and_b32 s15, s15, exec_lo
	s_branch .LBB2_12
.LBB2_11:
	s_mov_b32 s1, -1
	s_mov_b32 s15, 0
.LBB2_12:
	v_add_co_u32 v3, vcc_lo, s6, v3
	v_add_co_ci_u32_e32 v4, vcc_lo, s7, v4, vcc_lo
	v_add_co_u32 v5, vcc_lo, s8, v5
	v_add_co_ci_u32_e32 v6, vcc_lo, s9, v6, vcc_lo
	s_and_not1_b32 vcc_lo, exec_lo, s1
	s_cbranch_vccz .LBB2_16
; %bb.13:
	v_ashrrev_i32_e32 v1, 31, v0
	s_and_saveexec_b32 s1, s15
	s_cbranch_execnz .LBB2_17
.LBB2_14:
	s_or_b32 exec_lo, exec_lo, s1
	v_add_nc_u32_e32 v7, 0x80, v7
	s_and_not1_b32 vcc_lo, exec_lo, s4
	s_cbranch_vccnz .LBB2_18
.LBB2_15:
	s_delay_alu instid0(VALU_DEP_1) | instskip(SKIP_1) | instid1(VALU_DEP_1)
	v_cmp_gt_i32_e32 vcc_lo, s5, v7
	v_cmp_le_i32_e64 s1, v2, v7
	s_and_b32 s1, s1, vcc_lo
	s_delay_alu instid0(SALU_CYCLE_1)
	s_and_b32 s1, s1, exec_lo
	s_cbranch_execz .LBB2_19
	s_branch .LBB2_20
.LBB2_16:
	v_cmp_le_i32_e32 vcc_lo, v7, v2
	s_xor_b32 s1, s0, -1
	s_and_not1_b32 s15, s15, exec_lo
	s_and_b32 s1, vcc_lo, s1
	s_delay_alu instid0(SALU_CYCLE_1) | instskip(NEXT) | instid1(SALU_CYCLE_1)
	s_and_b32 s1, s1, exec_lo
	s_or_b32 s15, s15, s1
	v_ashrrev_i32_e32 v1, 31, v0
	s_and_saveexec_b32 s1, s15
	s_cbranch_execz .LBB2_14
.LBB2_17:
	v_ashrrev_i32_e32 v12, 31, v7
	v_mul_lo_u32 v13, v7, s3
	v_mad_u64_u32 v[8:9], null, v7, s2, 0
	v_mul_lo_u32 v15, v7, s11
	s_delay_alu instid0(VALU_DEP_4) | instskip(SKIP_2) | instid1(VALU_DEP_3)
	v_mul_lo_u32 v14, v12, s2
	v_mad_u64_u32 v[10:11], null, v7, s10, 0
	v_mul_lo_u32 v12, v12, s10
	v_add3_u32 v9, v9, v13, v14
	s_delay_alu instid0(VALU_DEP_2) | instskip(NEXT) | instid1(VALU_DEP_2)
	v_add3_u32 v11, v11, v15, v12
	v_lshlrev_b64 v[8:9], 2, v[8:9]
	s_delay_alu instid0(VALU_DEP_2) | instskip(NEXT) | instid1(VALU_DEP_2)
	v_lshlrev_b64 v[10:11], 2, v[10:11]
	v_add_co_u32 v8, vcc_lo, s6, v8
	s_delay_alu instid0(VALU_DEP_3) | instskip(NEXT) | instid1(VALU_DEP_3)
	v_add_co_ci_u32_e32 v9, vcc_lo, s7, v9, vcc_lo
	v_add_co_u32 v10, vcc_lo, s8, v10
	s_delay_alu instid0(VALU_DEP_4)
	v_add_co_ci_u32_e32 v11, vcc_lo, s9, v11, vcc_lo
	global_load_b32 v12, v[8:9], off
	v_lshlrev_b64 v[8:9], 2, v[0:1]
	s_clause 0x1
	global_load_b32 v10, v[10:11], off
	global_load_b32 v11, v[5:6], off
	;; [unrolled: 1-line block ×3, first 2 shown]
	v_add_co_u32 v8, vcc_lo, s13, v8
	v_add_co_ci_u32_e32 v9, vcc_lo, s14, v9, vcc_lo
	global_load_b32 v14, v[8:9], off
	s_waitcnt vmcnt(3)
	v_mul_f32_e32 v10, s12, v10
	v_mul_f32_e32 v12, s12, v12
	s_waitcnt vmcnt(2)
	s_delay_alu instid0(VALU_DEP_1) | instskip(SKIP_1) | instid1(VALU_DEP_1)
	v_mul_f32_e32 v11, v12, v11
	s_waitcnt vmcnt(1)
	v_fmac_f32_e32 v11, v10, v13
	s_waitcnt vmcnt(0)
	s_delay_alu instid0(VALU_DEP_1)
	v_add_f32_e32 v10, v14, v11
	global_store_b32 v[8:9], v10, off
	s_or_b32 exec_lo, exec_lo, s1
	v_add_nc_u32_e32 v7, 0x80, v7
	s_and_not1_b32 vcc_lo, exec_lo, s4
	s_cbranch_vccz .LBB2_15
.LBB2_18:
	s_mov_b32 s1, 0
.LBB2_19:
	s_delay_alu instid0(VALU_DEP_1) | instskip(SKIP_3) | instid1(SALU_CYCLE_1)
	v_cmp_le_i32_e32 vcc_lo, v7, v2
	s_xor_b32 s0, s0, -1
	s_and_not1_b32 s1, s1, exec_lo
	s_and_b32 s0, s0, vcc_lo
	s_and_b32 s0, s0, exec_lo
	s_delay_alu instid0(SALU_CYCLE_1)
	s_or_b32 s1, s1, s0
.LBB2_20:
	s_delay_alu instid0(SALU_CYCLE_1)
	s_and_saveexec_b32 s0, s1
	s_cbranch_execz .LBB2_22
; %bb.21:
	v_ashrrev_i32_e32 v2, 31, v7
	v_mul_lo_u32 v12, v7, s3
	v_mad_u64_u32 v[8:9], null, v7, s2, 0
	v_mul_lo_u32 v14, v7, s11
	s_delay_alu instid0(VALU_DEP_4) | instskip(SKIP_3) | instid1(VALU_DEP_4)
	v_mul_lo_u32 v13, v2, s2
	v_mad_u64_u32 v[10:11], null, v7, s10, 0
	v_mul_lo_u32 v2, v2, s10
	v_lshlrev_b64 v[0:1], 2, v[0:1]
	v_add3_u32 v9, v9, v12, v13
	s_delay_alu instid0(VALU_DEP_3) | instskip(NEXT) | instid1(VALU_DEP_2)
	v_add3_u32 v11, v11, v14, v2
	v_lshlrev_b64 v[7:8], 2, v[8:9]
	s_delay_alu instid0(VALU_DEP_2) | instskip(NEXT) | instid1(VALU_DEP_2)
	v_lshlrev_b64 v[9:10], 2, v[10:11]
	v_add_co_u32 v7, vcc_lo, s6, v7
	s_delay_alu instid0(VALU_DEP_3) | instskip(NEXT) | instid1(VALU_DEP_3)
	v_add_co_ci_u32_e32 v8, vcc_lo, s7, v8, vcc_lo
	v_add_co_u32 v9, vcc_lo, s8, v9
	s_delay_alu instid0(VALU_DEP_4)
	v_add_co_ci_u32_e32 v10, vcc_lo, s9, v10, vcc_lo
	global_load_b32 v2, v[7:8], off
	v_add_co_u32 v0, vcc_lo, s13, v0
	s_clause 0x1
	global_load_b32 v7, v[9:10], off
	global_load_b32 v5, v[5:6], off
	;; [unrolled: 1-line block ×3, first 2 shown]
	v_add_co_ci_u32_e32 v1, vcc_lo, s14, v1, vcc_lo
	global_load_b32 v4, v[0:1], off offset:512
	s_waitcnt vmcnt(4)
	v_mul_f32_e32 v2, s12, v2
	s_waitcnt vmcnt(3)
	v_mul_f32_e32 v6, s12, v7
	s_waitcnt vmcnt(2)
	s_delay_alu instid0(VALU_DEP_2) | instskip(SKIP_1) | instid1(VALU_DEP_1)
	v_mul_f32_e32 v2, v2, v5
	s_waitcnt vmcnt(1)
	v_fmac_f32_e32 v2, v6, v3
	s_waitcnt vmcnt(0)
	s_delay_alu instid0(VALU_DEP_1)
	v_add_f32_e32 v2, v4, v2
	global_store_b32 v[0:1], v2, off offset:512
.LBB2_22:
	s_nop 0
	s_sendmsg sendmsg(MSG_DEALLOC_VGPRS)
	s_endpgm
	.section	.rodata,"a",@progbits
	.p2align	6, 0x0
	.amdhsa_kernel _ZL19rocblas_spr2_kernelILi128ELi8ELi2E24rocblas_internal_val_ptrIfEPKPKfPKPfEvbbiT2_T3_lllSA_lllT4_lli
		.amdhsa_group_segment_fixed_size 0
		.amdhsa_private_segment_fixed_size 0
		.amdhsa_kernarg_size 108
		.amdhsa_user_sgpr_count 13
		.amdhsa_user_sgpr_dispatch_ptr 0
		.amdhsa_user_sgpr_queue_ptr 0
		.amdhsa_user_sgpr_kernarg_segment_ptr 1
		.amdhsa_user_sgpr_dispatch_id 0
		.amdhsa_user_sgpr_private_segment_size 0
		.amdhsa_wavefront_size32 1
		.amdhsa_uses_dynamic_stack 0
		.amdhsa_enable_private_segment 0
		.amdhsa_system_sgpr_workgroup_id_x 1
		.amdhsa_system_sgpr_workgroup_id_y 1
		.amdhsa_system_sgpr_workgroup_id_z 1
		.amdhsa_system_sgpr_workgroup_info 0
		.amdhsa_system_vgpr_workitem_id 1
		.amdhsa_next_free_vgpr 16
		.amdhsa_next_free_sgpr 26
		.amdhsa_reserve_vcc 1
		.amdhsa_float_round_mode_32 0
		.amdhsa_float_round_mode_16_64 0
		.amdhsa_float_denorm_mode_32 3
		.amdhsa_float_denorm_mode_16_64 3
		.amdhsa_dx10_clamp 1
		.amdhsa_ieee_mode 1
		.amdhsa_fp16_overflow 0
		.amdhsa_workgroup_processor_mode 1
		.amdhsa_memory_ordered 1
		.amdhsa_forward_progress 0
		.amdhsa_shared_vgpr_count 0
		.amdhsa_exception_fp_ieee_invalid_op 0
		.amdhsa_exception_fp_denorm_src 0
		.amdhsa_exception_fp_ieee_div_zero 0
		.amdhsa_exception_fp_ieee_overflow 0
		.amdhsa_exception_fp_ieee_underflow 0
		.amdhsa_exception_fp_ieee_inexact 0
		.amdhsa_exception_int_div_zero 0
	.end_amdhsa_kernel
	.section	.text._ZL19rocblas_spr2_kernelILi128ELi8ELi2E24rocblas_internal_val_ptrIfEPKPKfPKPfEvbbiT2_T3_lllSA_lllT4_lli,"axG",@progbits,_ZL19rocblas_spr2_kernelILi128ELi8ELi2E24rocblas_internal_val_ptrIfEPKPKfPKPfEvbbiT2_T3_lllSA_lllT4_lli,comdat
.Lfunc_end2:
	.size	_ZL19rocblas_spr2_kernelILi128ELi8ELi2E24rocblas_internal_val_ptrIfEPKPKfPKPfEvbbiT2_T3_lllSA_lllT4_lli, .Lfunc_end2-_ZL19rocblas_spr2_kernelILi128ELi8ELi2E24rocblas_internal_val_ptrIfEPKPKfPKPfEvbbiT2_T3_lllSA_lllT4_lli
                                        ; -- End function
	.section	.AMDGPU.csdata,"",@progbits
; Kernel info:
; codeLenInByte = 1244
; NumSgprs: 28
; NumVgprs: 16
; ScratchSize: 0
; MemoryBound: 0
; FloatMode: 240
; IeeeMode: 1
; LDSByteSize: 0 bytes/workgroup (compile time only)
; SGPRBlocks: 3
; VGPRBlocks: 1
; NumSGPRsForWavesPerEU: 28
; NumVGPRsForWavesPerEU: 16
; Occupancy: 16
; WaveLimiterHint : 1
; COMPUTE_PGM_RSRC2:SCRATCH_EN: 0
; COMPUTE_PGM_RSRC2:USER_SGPR: 13
; COMPUTE_PGM_RSRC2:TRAP_HANDLER: 0
; COMPUTE_PGM_RSRC2:TGID_X_EN: 1
; COMPUTE_PGM_RSRC2:TGID_Y_EN: 1
; COMPUTE_PGM_RSRC2:TGID_Z_EN: 1
; COMPUTE_PGM_RSRC2:TIDIG_COMP_CNT: 1
	.section	.text._ZL19rocblas_spr2_kernelILi128ELi8ELi1E24rocblas_internal_val_ptrIdEPKPKdPKPdEvbbiT2_T3_lllSA_lllT4_lli,"axG",@progbits,_ZL19rocblas_spr2_kernelILi128ELi8ELi1E24rocblas_internal_val_ptrIdEPKPKdPKPdEvbbiT2_T3_lllSA_lllT4_lli,comdat
	.globl	_ZL19rocblas_spr2_kernelILi128ELi8ELi1E24rocblas_internal_val_ptrIdEPKPKdPKPdEvbbiT2_T3_lllSA_lllT4_lli ; -- Begin function _ZL19rocblas_spr2_kernelILi128ELi8ELi1E24rocblas_internal_val_ptrIdEPKPKdPKPdEvbbiT2_T3_lllSA_lllT4_lli
	.p2align	8
	.type	_ZL19rocblas_spr2_kernelILi128ELi8ELi1E24rocblas_internal_val_ptrIdEPKPKdPKPdEvbbiT2_T3_lllSA_lllT4_lli,@function
_ZL19rocblas_spr2_kernelILi128ELi8ELi1E24rocblas_internal_val_ptrIdEPKPKdPKPdEvbbiT2_T3_lllSA_lllT4_lli: ; @_ZL19rocblas_spr2_kernelILi128ELi8ELi1E24rocblas_internal_val_ptrIdEPKPKdPKPdEvbbiT2_T3_lllSA_lllT4_lli
; %bb.0:
	s_clause 0x1
	s_load_b32 s2, s[0:1], 0x0
	s_load_b256 s[4:11], s[0:1], 0x8
	s_mov_b32 s24, s15
	s_waitcnt lgkmcnt(0)
	s_bitcmp1_b32 s2, 0
	v_dual_mov_b32 v1, s4 :: v_dual_mov_b32 v2, s5
	s_cselect_b32 s2, -1, 0
	s_delay_alu instid0(SALU_CYCLE_1)
	s_and_b32 vcc_lo, exec_lo, s2
	s_cbranch_vccnz .LBB3_2
; %bb.1:
	v_dual_mov_b32 v1, s4 :: v_dual_mov_b32 v2, s5
	flat_load_b64 v[1:2], v[1:2]
.LBB3_2:
	s_mov_b32 s2, exec_lo
	s_waitcnt vmcnt(0) lgkmcnt(0)
	v_cmpx_neq_f64_e32 0, v[1:2]
	s_cbranch_execz .LBB3_13
; %bb.3:
	s_clause 0x2
	s_load_b64 s[2:3], s[0:1], 0x0
	s_load_b128 s[16:19], s[0:1], 0x50
	s_load_b128 s[20:23], s[0:1], 0x30
	v_and_b32_e32 v3, 0x3ff, v0
	v_bfe_u32 v0, v0, 10, 10
	s_mov_b32 s25, 0
	s_delay_alu instid0(VALU_DEP_2) | instskip(NEXT) | instid1(VALU_DEP_2)
	v_lshl_add_u32 v4, s13, 7, v3
	v_lshl_add_u32 v0, s14, 3, v0
	s_waitcnt lgkmcnt(0)
	s_bitcmp1_b32 s2, 8
	s_cselect_b32 s2, -1, 0
	s_lshl_b64 s[14:15], s[24:25], 3
	s_xor_b32 s2, s2, -1
	s_add_u32 s4, s16, s14
	s_addc_u32 s5, s17, s15
	s_add_u32 s12, s6, s14
	s_addc_u32 s13, s7, s15
	;; [unrolled: 2-line block ×3, first 2 shown]
	s_and_b32 vcc_lo, exec_lo, s2
	s_mov_b32 s14, -1
	s_cbranch_vccz .LBB3_5
; %bb.4:
	s_lshl_b32 s14, s3, 1
	s_delay_alu instid0(SALU_CYCLE_1) | instskip(NEXT) | instid1(VALU_DEP_1)
	v_sub_nc_u32_e32 v3, s14, v0
	v_mad_u64_u32 v[5:6], null, v0, v3, v[0:1]
	s_delay_alu instid0(VALU_DEP_1) | instskip(NEXT) | instid1(VALU_DEP_1)
	v_lshrrev_b32_e32 v3, 31, v5
	v_add_nc_u32_e32 v3, v5, v3
	v_sub_nc_u32_e32 v5, v4, v0
	s_delay_alu instid0(VALU_DEP_2) | instskip(NEXT) | instid1(VALU_DEP_1)
	v_ashrrev_i32_e32 v3, 1, v3
	v_add_nc_u32_e32 v3, v5, v3
	s_cbranch_execz .LBB3_6
	s_branch .LBB3_7
.LBB3_5:
                                        ; implicit-def: $vgpr3
	s_and_not1_b32 vcc_lo, exec_lo, s14
	s_cbranch_vccnz .LBB3_7
.LBB3_6:
	v_mad_u64_u32 v[5:6], null, v0, v0, v[0:1]
	s_delay_alu instid0(VALU_DEP_1) | instskip(NEXT) | instid1(VALU_DEP_1)
	v_lshrrev_b32_e32 v3, 31, v5
	v_add_nc_u32_e32 v3, v5, v3
	s_delay_alu instid0(VALU_DEP_1) | instskip(NEXT) | instid1(VALU_DEP_1)
	v_ashrrev_i32_e32 v3, 1, v3
	v_add_nc_u32_e32 v3, v3, v4
.LBB3_7:
	s_and_b32 vcc_lo, exec_lo, s2
	s_cbranch_vccz .LBB3_9
; %bb.8:
	v_cmp_gt_i32_e32 vcc_lo, s3, v4
	v_cmp_ge_i32_e64 s2, v4, v0
	s_delay_alu instid0(VALU_DEP_1) | instskip(NEXT) | instid1(SALU_CYCLE_1)
	s_and_b32 s14, s2, vcc_lo
	s_and_b32 s14, s14, exec_lo
	s_cbranch_execz .LBB3_10
	s_branch .LBB3_11
.LBB3_9:
	s_mov_b32 s14, 0
.LBB3_10:
	v_cmp_gt_i32_e32 vcc_lo, s3, v0
	v_cmp_le_i32_e64 s2, v4, v0
	s_and_not1_b32 s3, s14, exec_lo
	s_delay_alu instid0(VALU_DEP_1) | instskip(NEXT) | instid1(SALU_CYCLE_1)
	s_and_b32 s2, s2, vcc_lo
	s_and_b32 s2, s2, exec_lo
	s_delay_alu instid0(SALU_CYCLE_1)
	s_or_b32 s14, s3, s2
.LBB3_11:
	s_delay_alu instid0(SALU_CYCLE_1)
	s_and_b32 exec_lo, exec_lo, s14
	s_cbranch_execz .LBB3_13
; %bb.12:
	s_load_b64 s[0:1], s[0:1], 0x40
	s_load_b64 s[2:3], s[12:13], 0x0
	v_ashrrev_i32_e32 v7, 31, v4
	s_load_b64 s[6:7], s[6:7], 0x0
	s_lshl_b64 s[8:9], s[8:9], 3
	v_ashrrev_i32_e32 v11, 31, v0
	v_mul_lo_u32 v12, v4, s11
	v_mul_lo_u32 v13, v7, s10
	s_delay_alu instid0(VALU_DEP_3)
	v_mul_lo_u32 v14, v11, s10
	s_waitcnt lgkmcnt(0)
	v_mul_lo_u32 v8, v4, s1
	v_mul_lo_u32 v9, v7, s0
	v_mad_u64_u32 v[5:6], null, v4, s0, 0
	s_add_u32 s8, s2, s8
	s_addc_u32 s9, s3, s9
	s_lshl_b64 s[2:3], s[22:23], 3
	s_delay_alu instid0(SALU_CYCLE_1) | instskip(SKIP_1) | instid1(VALU_DEP_1)
	s_add_u32 s2, s6, s2
	s_addc_u32 s3, s7, s3
	v_add3_u32 v6, v6, v8, v9
	v_mad_u64_u32 v[7:8], null, v4, s10, 0
	v_mul_lo_u32 v4, v0, s11
	v_mad_u64_u32 v[9:10], null, v0, s10, 0
	s_delay_alu instid0(VALU_DEP_4) | instskip(NEXT) | instid1(VALU_DEP_4)
	v_lshlrev_b64 v[5:6], 3, v[5:6]
	v_add3_u32 v8, v8, v12, v13
	v_mul_lo_u32 v13, v11, s0
	v_mad_u64_u32 v[11:12], null, v0, s0, 0
	s_delay_alu instid0(VALU_DEP_4)
	v_add_co_u32 v5, vcc_lo, s2, v5
	v_add_co_ci_u32_e32 v6, vcc_lo, s3, v6, vcc_lo
	v_add3_u32 v10, v10, v4, v14
	v_lshlrev_b64 v[7:8], 3, v[7:8]
	v_mul_lo_u32 v4, v0, s1
	global_load_b64 v[5:6], v[5:6], off
	v_lshlrev_b64 v[9:10], 3, v[9:10]
	v_add_co_u32 v7, vcc_lo, s8, v7
	v_add_co_ci_u32_e32 v8, vcc_lo, s9, v8, vcc_lo
	s_delay_alu instid0(VALU_DEP_3) | instskip(NEXT) | instid1(VALU_DEP_4)
	v_add_co_u32 v9, vcc_lo, s8, v9
	v_add_co_ci_u32_e32 v10, vcc_lo, s9, v10, vcc_lo
	s_clause 0x1
	global_load_b64 v[7:8], v[7:8], off
	global_load_b64 v[9:10], v[9:10], off
	v_add3_u32 v12, v12, v4, v13
	s_load_b64 s[0:1], s[4:5], 0x0
	v_ashrrev_i32_e32 v4, 31, v3
	s_delay_alu instid0(VALU_DEP_2) | instskip(NEXT) | instid1(VALU_DEP_2)
	v_lshlrev_b64 v[11:12], 3, v[11:12]
	v_lshlrev_b64 v[3:4], 3, v[3:4]
	s_delay_alu instid0(VALU_DEP_2) | instskip(NEXT) | instid1(VALU_DEP_3)
	v_add_co_u32 v11, vcc_lo, s2, v11
	v_add_co_ci_u32_e32 v12, vcc_lo, s3, v12, vcc_lo
	s_lshl_b64 s[2:3], s[18:19], 3
	global_load_b64 v[11:12], v[11:12], off
	s_waitcnt lgkmcnt(0)
	s_add_u32 s0, s0, s2
	s_addc_u32 s1, s1, s3
	v_add_co_u32 v3, vcc_lo, s0, v3
	v_add_co_ci_u32_e32 v4, vcc_lo, s1, v4, vcc_lo
	global_load_b64 v[13:14], v[3:4], off
	s_waitcnt vmcnt(4)
	v_mul_f64 v[5:6], v[1:2], v[5:6]
	s_waitcnt vmcnt(3)
	v_mul_f64 v[0:1], v[1:2], v[7:8]
	s_waitcnt vmcnt(2)
	s_delay_alu instid0(VALU_DEP_2) | instskip(SKIP_1) | instid1(VALU_DEP_1)
	v_mul_f64 v[5:6], v[5:6], v[9:10]
	s_waitcnt vmcnt(1)
	v_fma_f64 v[0:1], v[0:1], v[11:12], v[5:6]
	s_waitcnt vmcnt(0)
	s_delay_alu instid0(VALU_DEP_1)
	v_add_f64 v[0:1], v[13:14], v[0:1]
	global_store_b64 v[3:4], v[0:1], off
.LBB3_13:
	s_nop 0
	s_sendmsg sendmsg(MSG_DEALLOC_VGPRS)
	s_endpgm
	.section	.rodata,"a",@progbits
	.p2align	6, 0x0
	.amdhsa_kernel _ZL19rocblas_spr2_kernelILi128ELi8ELi1E24rocblas_internal_val_ptrIdEPKPKdPKPdEvbbiT2_T3_lllSA_lllT4_lli
		.amdhsa_group_segment_fixed_size 0
		.amdhsa_private_segment_fixed_size 0
		.amdhsa_kernarg_size 108
		.amdhsa_user_sgpr_count 13
		.amdhsa_user_sgpr_dispatch_ptr 0
		.amdhsa_user_sgpr_queue_ptr 0
		.amdhsa_user_sgpr_kernarg_segment_ptr 1
		.amdhsa_user_sgpr_dispatch_id 0
		.amdhsa_user_sgpr_private_segment_size 0
		.amdhsa_wavefront_size32 1
		.amdhsa_uses_dynamic_stack 0
		.amdhsa_enable_private_segment 0
		.amdhsa_system_sgpr_workgroup_id_x 1
		.amdhsa_system_sgpr_workgroup_id_y 1
		.amdhsa_system_sgpr_workgroup_id_z 1
		.amdhsa_system_sgpr_workgroup_info 0
		.amdhsa_system_vgpr_workitem_id 1
		.amdhsa_next_free_vgpr 15
		.amdhsa_next_free_sgpr 26
		.amdhsa_reserve_vcc 1
		.amdhsa_float_round_mode_32 0
		.amdhsa_float_round_mode_16_64 0
		.amdhsa_float_denorm_mode_32 3
		.amdhsa_float_denorm_mode_16_64 3
		.amdhsa_dx10_clamp 1
		.amdhsa_ieee_mode 1
		.amdhsa_fp16_overflow 0
		.amdhsa_workgroup_processor_mode 1
		.amdhsa_memory_ordered 1
		.amdhsa_forward_progress 0
		.amdhsa_shared_vgpr_count 0
		.amdhsa_exception_fp_ieee_invalid_op 0
		.amdhsa_exception_fp_denorm_src 0
		.amdhsa_exception_fp_ieee_div_zero 0
		.amdhsa_exception_fp_ieee_overflow 0
		.amdhsa_exception_fp_ieee_underflow 0
		.amdhsa_exception_fp_ieee_inexact 0
		.amdhsa_exception_int_div_zero 0
	.end_amdhsa_kernel
	.section	.text._ZL19rocblas_spr2_kernelILi128ELi8ELi1E24rocblas_internal_val_ptrIdEPKPKdPKPdEvbbiT2_T3_lllSA_lllT4_lli,"axG",@progbits,_ZL19rocblas_spr2_kernelILi128ELi8ELi1E24rocblas_internal_val_ptrIdEPKPKdPKPdEvbbiT2_T3_lllSA_lllT4_lli,comdat
.Lfunc_end3:
	.size	_ZL19rocblas_spr2_kernelILi128ELi8ELi1E24rocblas_internal_val_ptrIdEPKPKdPKPdEvbbiT2_T3_lllSA_lllT4_lli, .Lfunc_end3-_ZL19rocblas_spr2_kernelILi128ELi8ELi1E24rocblas_internal_val_ptrIdEPKPKdPKPdEvbbiT2_T3_lllSA_lllT4_lli
                                        ; -- End function
	.section	.AMDGPU.csdata,"",@progbits
; Kernel info:
; codeLenInByte = 876
; NumSgprs: 28
; NumVgprs: 15
; ScratchSize: 0
; MemoryBound: 0
; FloatMode: 240
; IeeeMode: 1
; LDSByteSize: 0 bytes/workgroup (compile time only)
; SGPRBlocks: 3
; VGPRBlocks: 1
; NumSGPRsForWavesPerEU: 28
; NumVGPRsForWavesPerEU: 15
; Occupancy: 16
; WaveLimiterHint : 1
; COMPUTE_PGM_RSRC2:SCRATCH_EN: 0
; COMPUTE_PGM_RSRC2:USER_SGPR: 13
; COMPUTE_PGM_RSRC2:TRAP_HANDLER: 0
; COMPUTE_PGM_RSRC2:TGID_X_EN: 1
; COMPUTE_PGM_RSRC2:TGID_Y_EN: 1
; COMPUTE_PGM_RSRC2:TGID_Z_EN: 1
; COMPUTE_PGM_RSRC2:TIDIG_COMP_CNT: 1
	.text
	.p2alignl 7, 3214868480
	.fill 96, 4, 3214868480
	.type	__hip_cuid_1d7289e3062d2f5e,@object ; @__hip_cuid_1d7289e3062d2f5e
	.section	.bss,"aw",@nobits
	.globl	__hip_cuid_1d7289e3062d2f5e
__hip_cuid_1d7289e3062d2f5e:
	.byte	0                               ; 0x0
	.size	__hip_cuid_1d7289e3062d2f5e, 1

	.ident	"AMD clang version 19.0.0git (https://github.com/RadeonOpenCompute/llvm-project roc-6.4.0 25133 c7fe45cf4b819c5991fe208aaa96edf142730f1d)"
	.section	".note.GNU-stack","",@progbits
	.addrsig
	.addrsig_sym __hip_cuid_1d7289e3062d2f5e
	.amdgpu_metadata
---
amdhsa.kernels:
  - .args:
      - .offset:         0
        .size:           1
        .value_kind:     by_value
      - .offset:         1
        .size:           1
        .value_kind:     by_value
      - .offset:         4
        .size:           4
        .value_kind:     by_value
      - .offset:         8
        .size:           8
        .value_kind:     by_value
      - .address_space:  global
        .offset:         16
        .size:           8
        .value_kind:     global_buffer
      - .offset:         24
        .size:           8
        .value_kind:     by_value
      - .offset:         32
        .size:           8
        .value_kind:     by_value
      - .offset:         40
        .size:           8
        .value_kind:     by_value
      - .address_space:  global
        .offset:         48
        .size:           8
        .value_kind:     global_buffer
      - .offset:         56
        .size:           8
        .value_kind:     by_value
      - .offset:         64
        .size:           8
        .value_kind:     by_value
      - .offset:         72
        .size:           8
        .value_kind:     by_value
      - .address_space:  global
        .offset:         80
        .size:           8
        .value_kind:     global_buffer
      - .offset:         88
        .size:           8
        .value_kind:     by_value
      - .offset:         96
        .size:           8
        .value_kind:     by_value
      - .offset:         104
        .size:           4
        .value_kind:     by_value
    .group_segment_fixed_size: 0
    .kernarg_segment_align: 8
    .kernarg_segment_size: 108
    .language:       OpenCL C
    .language_version:
      - 2
      - 0
    .max_flat_workgroup_size: 1024
    .name:           _ZL19rocblas_spr2_kernelILi128ELi8ELi2E24rocblas_internal_val_ptrIfEPKfPfEvbbiT2_T3_lllS6_lllT4_lli
    .private_segment_fixed_size: 0
    .sgpr_count:     34
    .sgpr_spill_count: 0
    .symbol:         _ZL19rocblas_spr2_kernelILi128ELi8ELi2E24rocblas_internal_val_ptrIfEPKfPfEvbbiT2_T3_lllS6_lllT4_lli.kd
    .uniform_work_group_size: 1
    .uses_dynamic_stack: false
    .vgpr_count:     16
    .vgpr_spill_count: 0
    .wavefront_size: 32
    .workgroup_processor_mode: 1
  - .args:
      - .offset:         0
        .size:           1
        .value_kind:     by_value
      - .offset:         1
        .size:           1
        .value_kind:     by_value
      - .offset:         4
        .size:           4
        .value_kind:     by_value
      - .offset:         8
        .size:           8
        .value_kind:     by_value
      - .address_space:  global
        .offset:         16
        .size:           8
        .value_kind:     global_buffer
      - .offset:         24
        .size:           8
        .value_kind:     by_value
      - .offset:         32
        .size:           8
        .value_kind:     by_value
      - .offset:         40
        .size:           8
        .value_kind:     by_value
      - .address_space:  global
        .offset:         48
        .size:           8
        .value_kind:     global_buffer
      - .offset:         56
        .size:           8
        .value_kind:     by_value
      - .offset:         64
        .size:           8
        .value_kind:     by_value
      - .offset:         72
        .size:           8
        .value_kind:     by_value
      - .address_space:  global
        .offset:         80
        .size:           8
        .value_kind:     global_buffer
      - .offset:         88
        .size:           8
        .value_kind:     by_value
      - .offset:         96
        .size:           8
        .value_kind:     by_value
      - .offset:         104
        .size:           4
        .value_kind:     by_value
    .group_segment_fixed_size: 0
    .kernarg_segment_align: 8
    .kernarg_segment_size: 108
    .language:       OpenCL C
    .language_version:
      - 2
      - 0
    .max_flat_workgroup_size: 1024
    .name:           _ZL19rocblas_spr2_kernelILi128ELi8ELi1E24rocblas_internal_val_ptrIdEPKdPdEvbbiT2_T3_lllS6_lllT4_lli
    .private_segment_fixed_size: 0
    .sgpr_count:     34
    .sgpr_spill_count: 0
    .symbol:         _ZL19rocblas_spr2_kernelILi128ELi8ELi1E24rocblas_internal_val_ptrIdEPKdPdEvbbiT2_T3_lllS6_lllT4_lli.kd
    .uniform_work_group_size: 1
    .uses_dynamic_stack: false
    .vgpr_count:     15
    .vgpr_spill_count: 0
    .wavefront_size: 32
    .workgroup_processor_mode: 1
  - .args:
      - .offset:         0
        .size:           1
        .value_kind:     by_value
      - .offset:         1
        .size:           1
        .value_kind:     by_value
      - .offset:         4
        .size:           4
        .value_kind:     by_value
      - .offset:         8
        .size:           8
        .value_kind:     by_value
      - .address_space:  global
        .offset:         16
        .size:           8
        .value_kind:     global_buffer
      - .offset:         24
        .size:           8
        .value_kind:     by_value
      - .offset:         32
        .size:           8
        .value_kind:     by_value
      - .offset:         40
        .size:           8
        .value_kind:     by_value
      - .address_space:  global
        .offset:         48
        .size:           8
        .value_kind:     global_buffer
      - .offset:         56
        .size:           8
        .value_kind:     by_value
      - .offset:         64
        .size:           8
        .value_kind:     by_value
      - .offset:         72
        .size:           8
        .value_kind:     by_value
      - .address_space:  global
        .offset:         80
        .size:           8
        .value_kind:     global_buffer
      - .offset:         88
        .size:           8
        .value_kind:     by_value
      - .offset:         96
        .size:           8
        .value_kind:     by_value
      - .offset:         104
        .size:           4
        .value_kind:     by_value
    .group_segment_fixed_size: 0
    .kernarg_segment_align: 8
    .kernarg_segment_size: 108
    .language:       OpenCL C
    .language_version:
      - 2
      - 0
    .max_flat_workgroup_size: 1024
    .name:           _ZL19rocblas_spr2_kernelILi128ELi8ELi2E24rocblas_internal_val_ptrIfEPKPKfPKPfEvbbiT2_T3_lllSA_lllT4_lli
    .private_segment_fixed_size: 0
    .sgpr_count:     28
    .sgpr_spill_count: 0
    .symbol:         _ZL19rocblas_spr2_kernelILi128ELi8ELi2E24rocblas_internal_val_ptrIfEPKPKfPKPfEvbbiT2_T3_lllSA_lllT4_lli.kd
    .uniform_work_group_size: 1
    .uses_dynamic_stack: false
    .vgpr_count:     16
    .vgpr_spill_count: 0
    .wavefront_size: 32
    .workgroup_processor_mode: 1
  - .args:
      - .offset:         0
        .size:           1
        .value_kind:     by_value
      - .offset:         1
        .size:           1
        .value_kind:     by_value
      - .offset:         4
        .size:           4
        .value_kind:     by_value
      - .offset:         8
        .size:           8
        .value_kind:     by_value
      - .address_space:  global
        .offset:         16
        .size:           8
        .value_kind:     global_buffer
      - .offset:         24
        .size:           8
        .value_kind:     by_value
      - .offset:         32
        .size:           8
        .value_kind:     by_value
      - .offset:         40
        .size:           8
        .value_kind:     by_value
      - .address_space:  global
        .offset:         48
        .size:           8
        .value_kind:     global_buffer
      - .offset:         56
        .size:           8
        .value_kind:     by_value
      - .offset:         64
        .size:           8
        .value_kind:     by_value
      - .offset:         72
        .size:           8
        .value_kind:     by_value
      - .address_space:  global
        .offset:         80
        .size:           8
        .value_kind:     global_buffer
      - .offset:         88
        .size:           8
        .value_kind:     by_value
      - .offset:         96
        .size:           8
        .value_kind:     by_value
      - .offset:         104
        .size:           4
        .value_kind:     by_value
    .group_segment_fixed_size: 0
    .kernarg_segment_align: 8
    .kernarg_segment_size: 108
    .language:       OpenCL C
    .language_version:
      - 2
      - 0
    .max_flat_workgroup_size: 1024
    .name:           _ZL19rocblas_spr2_kernelILi128ELi8ELi1E24rocblas_internal_val_ptrIdEPKPKdPKPdEvbbiT2_T3_lllSA_lllT4_lli
    .private_segment_fixed_size: 0
    .sgpr_count:     28
    .sgpr_spill_count: 0
    .symbol:         _ZL19rocblas_spr2_kernelILi128ELi8ELi1E24rocblas_internal_val_ptrIdEPKPKdPKPdEvbbiT2_T3_lllSA_lllT4_lli.kd
    .uniform_work_group_size: 1
    .uses_dynamic_stack: false
    .vgpr_count:     15
    .vgpr_spill_count: 0
    .wavefront_size: 32
    .workgroup_processor_mode: 1
amdhsa.target:   amdgcn-amd-amdhsa--gfx1100
amdhsa.version:
  - 1
  - 2
...

	.end_amdgpu_metadata
